;; amdgpu-corpus repo=ROCm/rocFFT kind=compiled arch=gfx1030 opt=O3
	.text
	.amdgcn_target "amdgcn-amd-amdhsa--gfx1030"
	.amdhsa_code_object_version 6
	.protected	fft_rtc_fwd_len1950_factors_13_5_10_3_wgs_195_tpt_195_dp_op_CI_CI_unitstride_sbrr_dirReg ; -- Begin function fft_rtc_fwd_len1950_factors_13_5_10_3_wgs_195_tpt_195_dp_op_CI_CI_unitstride_sbrr_dirReg
	.globl	fft_rtc_fwd_len1950_factors_13_5_10_3_wgs_195_tpt_195_dp_op_CI_CI_unitstride_sbrr_dirReg
	.p2align	8
	.type	fft_rtc_fwd_len1950_factors_13_5_10_3_wgs_195_tpt_195_dp_op_CI_CI_unitstride_sbrr_dirReg,@function
fft_rtc_fwd_len1950_factors_13_5_10_3_wgs_195_tpt_195_dp_op_CI_CI_unitstride_sbrr_dirReg: ; @fft_rtc_fwd_len1950_factors_13_5_10_3_wgs_195_tpt_195_dp_op_CI_CI_unitstride_sbrr_dirReg
; %bb.0:
	s_clause 0x2
	s_load_dwordx4 s[8:11], s[4:5], 0x0
	s_load_dwordx4 s[12:15], s[4:5], 0x58
	;; [unrolled: 1-line block ×3, first 2 shown]
	v_mul_u32_u24_e32 v1, 0x151, v0
	v_mov_b32_e32 v3, 0
	v_add_nc_u32_sdwa v5, s6, v1 dst_sel:DWORD dst_unused:UNUSED_PAD src0_sel:DWORD src1_sel:WORD_1
	v_mov_b32_e32 v1, 0
	v_mov_b32_e32 v6, v3
	v_mov_b32_e32 v2, 0
	s_waitcnt lgkmcnt(0)
	v_cmp_lt_u64_e64 s0, s[10:11], 2
	s_and_b32 vcc_lo, exec_lo, s0
	s_cbranch_vccnz .LBB0_8
; %bb.1:
	s_load_dwordx2 s[0:1], s[4:5], 0x10
	v_mov_b32_e32 v1, 0
	v_mov_b32_e32 v2, 0
	s_add_u32 s2, s18, 8
	s_addc_u32 s3, s19, 0
	s_add_u32 s6, s16, 8
	s_addc_u32 s7, s17, 0
	v_mov_b32_e32 v61, v2
	v_mov_b32_e32 v60, v1
	s_mov_b64 s[22:23], 1
	s_waitcnt lgkmcnt(0)
	s_add_u32 s20, s0, 8
	s_addc_u32 s21, s1, 0
.LBB0_2:                                ; =>This Inner Loop Header: Depth=1
	s_load_dwordx2 s[24:25], s[20:21], 0x0
                                        ; implicit-def: $vgpr64_vgpr65
	s_mov_b32 s0, exec_lo
	s_waitcnt lgkmcnt(0)
	v_or_b32_e32 v4, s25, v6
	v_cmpx_ne_u64_e32 0, v[3:4]
	s_xor_b32 s1, exec_lo, s0
	s_cbranch_execz .LBB0_4
; %bb.3:                                ;   in Loop: Header=BB0_2 Depth=1
	v_cvt_f32_u32_e32 v4, s24
	v_cvt_f32_u32_e32 v7, s25
	s_sub_u32 s0, 0, s24
	s_subb_u32 s26, 0, s25
	v_fmac_f32_e32 v4, 0x4f800000, v7
	v_rcp_f32_e32 v4, v4
	v_mul_f32_e32 v4, 0x5f7ffffc, v4
	v_mul_f32_e32 v7, 0x2f800000, v4
	v_trunc_f32_e32 v7, v7
	v_fmac_f32_e32 v4, 0xcf800000, v7
	v_cvt_u32_f32_e32 v7, v7
	v_cvt_u32_f32_e32 v4, v4
	v_mul_lo_u32 v8, s0, v7
	v_mul_hi_u32 v9, s0, v4
	v_mul_lo_u32 v10, s26, v4
	v_add_nc_u32_e32 v8, v9, v8
	v_mul_lo_u32 v9, s0, v4
	v_add_nc_u32_e32 v8, v8, v10
	v_mul_hi_u32 v10, v4, v9
	v_mul_lo_u32 v11, v4, v8
	v_mul_hi_u32 v12, v4, v8
	v_mul_hi_u32 v13, v7, v9
	v_mul_lo_u32 v9, v7, v9
	v_mul_hi_u32 v14, v7, v8
	v_mul_lo_u32 v8, v7, v8
	v_add_co_u32 v10, vcc_lo, v10, v11
	v_add_co_ci_u32_e32 v11, vcc_lo, 0, v12, vcc_lo
	v_add_co_u32 v9, vcc_lo, v10, v9
	v_add_co_ci_u32_e32 v9, vcc_lo, v11, v13, vcc_lo
	v_add_co_ci_u32_e32 v10, vcc_lo, 0, v14, vcc_lo
	v_add_co_u32 v8, vcc_lo, v9, v8
	v_add_co_ci_u32_e32 v9, vcc_lo, 0, v10, vcc_lo
	v_add_co_u32 v4, vcc_lo, v4, v8
	v_add_co_ci_u32_e32 v7, vcc_lo, v7, v9, vcc_lo
	v_mul_hi_u32 v8, s0, v4
	v_mul_lo_u32 v10, s26, v4
	v_mul_lo_u32 v9, s0, v7
	v_add_nc_u32_e32 v8, v8, v9
	v_mul_lo_u32 v9, s0, v4
	v_add_nc_u32_e32 v8, v8, v10
	v_mul_hi_u32 v10, v4, v9
	v_mul_lo_u32 v11, v4, v8
	v_mul_hi_u32 v12, v4, v8
	v_mul_hi_u32 v13, v7, v9
	v_mul_lo_u32 v9, v7, v9
	v_mul_hi_u32 v14, v7, v8
	v_mul_lo_u32 v8, v7, v8
	v_add_co_u32 v10, vcc_lo, v10, v11
	v_add_co_ci_u32_e32 v11, vcc_lo, 0, v12, vcc_lo
	v_add_co_u32 v9, vcc_lo, v10, v9
	v_add_co_ci_u32_e32 v9, vcc_lo, v11, v13, vcc_lo
	v_add_co_ci_u32_e32 v10, vcc_lo, 0, v14, vcc_lo
	v_add_co_u32 v8, vcc_lo, v9, v8
	v_add_co_ci_u32_e32 v9, vcc_lo, 0, v10, vcc_lo
	v_add_co_u32 v4, vcc_lo, v4, v8
	v_add_co_ci_u32_e32 v11, vcc_lo, v7, v9, vcc_lo
	v_mul_hi_u32 v13, v5, v4
	v_mad_u64_u32 v[9:10], null, v6, v4, 0
	v_mad_u64_u32 v[7:8], null, v5, v11, 0
	;; [unrolled: 1-line block ×3, first 2 shown]
	v_add_co_u32 v4, vcc_lo, v13, v7
	v_add_co_ci_u32_e32 v7, vcc_lo, 0, v8, vcc_lo
	v_add_co_u32 v4, vcc_lo, v4, v9
	v_add_co_ci_u32_e32 v4, vcc_lo, v7, v10, vcc_lo
	v_add_co_ci_u32_e32 v7, vcc_lo, 0, v12, vcc_lo
	v_add_co_u32 v4, vcc_lo, v4, v11
	v_add_co_ci_u32_e32 v9, vcc_lo, 0, v7, vcc_lo
	v_mul_lo_u32 v10, s25, v4
	v_mad_u64_u32 v[7:8], null, s24, v4, 0
	v_mul_lo_u32 v11, s24, v9
	v_sub_co_u32 v7, vcc_lo, v5, v7
	v_add3_u32 v8, v8, v11, v10
	v_sub_nc_u32_e32 v10, v6, v8
	v_subrev_co_ci_u32_e64 v10, s0, s25, v10, vcc_lo
	v_add_co_u32 v11, s0, v4, 2
	v_add_co_ci_u32_e64 v12, s0, 0, v9, s0
	v_sub_co_u32 v13, s0, v7, s24
	v_sub_co_ci_u32_e32 v8, vcc_lo, v6, v8, vcc_lo
	v_subrev_co_ci_u32_e64 v10, s0, 0, v10, s0
	v_cmp_le_u32_e32 vcc_lo, s24, v13
	v_cmp_eq_u32_e64 s0, s25, v8
	v_cndmask_b32_e64 v13, 0, -1, vcc_lo
	v_cmp_le_u32_e32 vcc_lo, s25, v10
	v_cndmask_b32_e64 v14, 0, -1, vcc_lo
	v_cmp_le_u32_e32 vcc_lo, s24, v7
	;; [unrolled: 2-line block ×3, first 2 shown]
	v_cndmask_b32_e64 v15, 0, -1, vcc_lo
	v_cmp_eq_u32_e32 vcc_lo, s25, v10
	v_cndmask_b32_e64 v7, v15, v7, s0
	v_cndmask_b32_e32 v10, v14, v13, vcc_lo
	v_add_co_u32 v13, vcc_lo, v4, 1
	v_add_co_ci_u32_e32 v14, vcc_lo, 0, v9, vcc_lo
	v_cmp_ne_u32_e32 vcc_lo, 0, v10
	v_cndmask_b32_e32 v8, v14, v12, vcc_lo
	v_cndmask_b32_e32 v10, v13, v11, vcc_lo
	v_cmp_ne_u32_e32 vcc_lo, 0, v7
	v_cndmask_b32_e32 v65, v9, v8, vcc_lo
	v_cndmask_b32_e32 v64, v4, v10, vcc_lo
.LBB0_4:                                ;   in Loop: Header=BB0_2 Depth=1
	s_andn2_saveexec_b32 s0, s1
	s_cbranch_execz .LBB0_6
; %bb.5:                                ;   in Loop: Header=BB0_2 Depth=1
	v_cvt_f32_u32_e32 v4, s24
	s_sub_i32 s1, 0, s24
	v_mov_b32_e32 v65, v3
	v_rcp_iflag_f32_e32 v4, v4
	v_mul_f32_e32 v4, 0x4f7ffffe, v4
	v_cvt_u32_f32_e32 v4, v4
	v_mul_lo_u32 v7, s1, v4
	v_mul_hi_u32 v7, v4, v7
	v_add_nc_u32_e32 v4, v4, v7
	v_mul_hi_u32 v4, v5, v4
	v_mul_lo_u32 v7, v4, s24
	v_add_nc_u32_e32 v8, 1, v4
	v_sub_nc_u32_e32 v7, v5, v7
	v_subrev_nc_u32_e32 v9, s24, v7
	v_cmp_le_u32_e32 vcc_lo, s24, v7
	v_cndmask_b32_e32 v7, v7, v9, vcc_lo
	v_cndmask_b32_e32 v4, v4, v8, vcc_lo
	v_cmp_le_u32_e32 vcc_lo, s24, v7
	v_add_nc_u32_e32 v8, 1, v4
	v_cndmask_b32_e32 v64, v4, v8, vcc_lo
.LBB0_6:                                ;   in Loop: Header=BB0_2 Depth=1
	s_or_b32 exec_lo, exec_lo, s0
	v_mul_lo_u32 v4, v65, s24
	v_mul_lo_u32 v9, v64, s25
	s_load_dwordx2 s[0:1], s[6:7], 0x0
	v_mad_u64_u32 v[7:8], null, v64, s24, 0
	s_load_dwordx2 s[24:25], s[2:3], 0x0
	s_add_u32 s22, s22, 1
	s_addc_u32 s23, s23, 0
	s_add_u32 s2, s2, 8
	s_addc_u32 s3, s3, 0
	s_add_u32 s6, s6, 8
	v_add3_u32 v4, v8, v9, v4
	v_sub_co_u32 v5, vcc_lo, v5, v7
	s_addc_u32 s7, s7, 0
	s_add_u32 s20, s20, 8
	v_sub_co_ci_u32_e32 v4, vcc_lo, v6, v4, vcc_lo
	s_addc_u32 s21, s21, 0
	s_waitcnt lgkmcnt(0)
	v_mul_lo_u32 v6, s0, v4
	v_mul_lo_u32 v7, s1, v5
	v_mad_u64_u32 v[1:2], null, s0, v5, v[1:2]
	v_mul_lo_u32 v4, s24, v4
	v_mul_lo_u32 v8, s25, v5
	v_mad_u64_u32 v[60:61], null, s24, v5, v[60:61]
	v_cmp_ge_u64_e64 s0, s[22:23], s[10:11]
	v_add3_u32 v2, v7, v2, v6
	v_add3_u32 v61, v8, v61, v4
	s_and_b32 vcc_lo, exec_lo, s0
	s_cbranch_vccnz .LBB0_9
; %bb.7:                                ;   in Loop: Header=BB0_2 Depth=1
	v_mov_b32_e32 v5, v64
	v_mov_b32_e32 v6, v65
	s_branch .LBB0_2
.LBB0_8:
	v_mov_b32_e32 v61, v2
	v_mov_b32_e32 v65, v6
	;; [unrolled: 1-line block ×4, first 2 shown]
.LBB0_9:
	s_load_dwordx2 s[0:1], s[4:5], 0x28
	v_mul_hi_u32 v3, 0x1501502, v0
	s_lshl_b64 s[4:5], s[10:11], 3
                                        ; implicit-def: $vgpr10_vgpr11
                                        ; implicit-def: $vgpr14_vgpr15
                                        ; implicit-def: $vgpr18_vgpr19
                                        ; implicit-def: $vgpr22_vgpr23
                                        ; implicit-def: $vgpr38_vgpr39
                                        ; implicit-def: $vgpr30_vgpr31
                                        ; implicit-def: $vgpr34_vgpr35
                                        ; implicit-def: $vgpr42_vgpr43
                                        ; implicit-def: $vgpr46_vgpr47
                                        ; implicit-def: $vgpr50_vgpr51
                                        ; implicit-def: $vgpr54_vgpr55
                                        ; implicit-def: $vgpr58_vgpr59
                                        ; implicit-def: $vgpr26_vgpr27
	s_add_u32 s2, s18, s4
	s_addc_u32 s3, s19, s5
	v_mul_u32_u24_e32 v3, 0xc3, v3
	v_sub_nc_u32_e32 v62, v0, v3
	s_waitcnt lgkmcnt(0)
	v_cmp_gt_u64_e32 vcc_lo, s[0:1], v[64:65]
	v_cmp_gt_u32_e64 s0, 0x96, v62
	s_and_b32 s1, vcc_lo, s0
	s_and_saveexec_b32 s6, s1
	s_cbranch_execz .LBB0_11
; %bb.10:
	s_add_u32 s4, s16, s4
	s_addc_u32 s5, s17, s5
	v_mov_b32_e32 v63, 0
	s_load_dwordx2 s[4:5], s[4:5], 0x0
	s_waitcnt lgkmcnt(0)
	v_mul_lo_u32 v0, s5, v64
	v_mul_lo_u32 v5, s4, v65
	v_mad_u64_u32 v[3:4], null, s4, v64, 0
	v_add3_u32 v4, v4, v5, v0
	v_lshlrev_b64 v[0:1], 4, v[1:2]
	v_lshlrev_b64 v[3:4], 4, v[3:4]
	v_add_co_u32 v5, s1, s12, v3
	v_add_co_ci_u32_e64 v4, s1, s13, v4, s1
	v_lshlrev_b64 v[2:3], 4, v[62:63]
	v_add_co_u32 v0, s1, v5, v0
	v_add_co_ci_u32_e64 v1, s1, v4, v1, s1
	v_add_co_u32 v0, s1, v0, v2
	v_add_co_ci_u32_e64 v1, s1, v1, v3, s1
	;; [unrolled: 2-line block ×9, first 2 shown]
	s_clause 0x7
	global_load_dwordx4 v[24:27], v[0:1], off
	global_load_dwordx4 v[56:59], v[2:3], off offset:352
	global_load_dwordx4 v[52:55], v[4:5], off offset:704
	;; [unrolled: 1-line block ×7, first 2 shown]
	v_add_co_u32 v2, s1, 0x4800, v0
	v_add_co_ci_u32_e64 v3, s1, 0, v1, s1
	v_add_co_u32 v4, s1, 0x5000, v0
	v_add_co_ci_u32_e64 v5, s1, 0, v1, s1
	;; [unrolled: 2-line block ×5, first 2 shown]
	s_clause 0x4
	global_load_dwordx4 v[36:39], v[2:3], off offset:768
	global_load_dwordx4 v[20:23], v[4:5], off offset:1120
	;; [unrolled: 1-line block ×5, first 2 shown]
.LBB0_11:
	s_or_b32 exec_lo, exec_lo, s6
	s_waitcnt vmcnt(0)
	v_add_f64 v[142:143], v[8:9], v[56:57]
	v_add_f64 v[152:153], v[56:57], -v[8:9]
	s_mov_b32 s4, 0x1ea71119
	s_mov_b32 s10, 0x42a4c3d2
	;; [unrolled: 1-line block ×8, first 2 shown]
	v_add_f64 v[150:151], v[58:59], -v[10:11]
	v_add_f64 v[66:67], v[12:13], v[52:53]
	v_add_f64 v[148:149], v[10:11], v[58:59]
	v_add_f64 v[68:69], v[52:53], -v[12:13]
	s_mov_b32 s18, 0xb2365da1
	s_mov_b32 s24, 0x2ef20147
	;; [unrolled: 1-line block ×8, first 2 shown]
	v_mul_f64 v[154:155], v[142:143], s[4:5]
	v_mul_f64 v[156:157], v[152:153], s[10:11]
	v_mul_f64 v[158:159], v[142:143], s[6:7]
	v_mul_f64 v[160:161], v[152:153], s[22:23]
	v_add_f64 v[134:135], v[54:55], -v[14:15]
	v_add_f64 v[106:107], v[14:15], v[54:55]
	v_add_f64 v[76:77], v[16:17], v[48:49]
	v_add_f64 v[122:123], v[48:49], -v[16:17]
	s_mov_b32 s31, 0x3fedeba7
	s_mov_b32 s30, s24
	v_add_f64 v[124:125], v[50:51], -v[18:19]
	v_mul_f64 v[126:127], v[66:67], s[18:19]
	v_mul_f64 v[136:137], v[66:67], s[12:13]
	;; [unrolled: 1-line block ×4, first 2 shown]
	v_add_f64 v[84:85], v[18:19], v[50:51]
	v_add_f64 v[70:71], v[20:21], v[44:45]
	v_add_f64 v[96:97], v[44:45], -v[20:21]
	s_mov_b32 s16, 0xd0032e0c
	s_mov_b32 s34, 0x24c2f84
	;; [unrolled: 1-line block ×4, first 2 shown]
	v_fma_f64 v[0:1], v[150:151], s[10:11], v[154:155]
	v_fma_f64 v[2:3], v[148:149], s[4:5], -v[156:157]
	v_fma_f64 v[4:5], v[150:151], s[22:23], v[158:159]
	v_fma_f64 v[6:7], v[148:149], s[6:7], -v[160:161]
	s_mov_b32 s35, 0x3fe5384d
	s_mov_b32 s27, 0x3fec55a7
	v_mul_f64 v[120:121], v[76:77], s[12:13]
	v_mul_f64 v[128:129], v[122:123], s[20:21]
	;; [unrolled: 1-line block ×4, first 2 shown]
	s_mov_b32 s39, 0x3fddbe06
	v_fma_f64 v[74:75], v[134:135], s[24:25], v[126:127]
	v_fma_f64 v[82:83], v[134:135], s[20:21], v[136:137]
	v_fma_f64 v[80:81], v[106:107], s[18:19], -v[130:131]
	v_fma_f64 v[88:89], v[106:107], s[12:13], -v[146:147]
	s_mov_b32 s38, 0x4267c47c
	v_add_f64 v[118:119], v[46:47], -v[22:23]
	v_add_f64 v[78:79], v[22:23], v[46:47]
	v_add_f64 v[72:73], v[36:37], v[40:41]
	v_add_f64 v[86:87], v[40:41], -v[36:37]
	v_mul_f64 v[92:93], v[70:71], s[16:17]
	v_mul_f64 v[104:105], v[96:97], s[34:35]
	v_add_f64 v[0:1], v[24:25], v[0:1]
	v_add_f64 v[2:3], v[26:27], v[2:3]
	;; [unrolled: 1-line block ×4, first 2 shown]
	v_mul_f64 v[138:139], v[70:71], s[26:27]
	v_mul_f64 v[140:141], v[96:97], s[38:39]
	v_fma_f64 v[90:91], v[124:125], s[20:21], v[120:121]
	v_fma_f64 v[98:99], v[84:85], s[12:13], -v[128:129]
	v_fma_f64 v[102:103], v[124:125], s[30:31], v[132:133]
	v_fma_f64 v[110:111], v[84:85], s[18:19], -v[144:145]
	s_mov_b32 s37, 0x3fefc445
	s_mov_b32 s36, s22
	v_add_f64 v[112:113], v[42:43], -v[38:39]
	s_mov_b32 s29, 0xbfe5384d
	s_mov_b32 s28, s34
	v_mul_f64 v[94:95], v[72:73], s[6:7]
	v_mul_f64 v[100:101], v[86:87], s[36:37]
	;; [unrolled: 1-line block ×4, first 2 shown]
	v_add_f64 v[0:1], v[74:75], v[0:1]
	v_add_f64 v[2:3], v[80:81], v[2:3]
	;; [unrolled: 1-line block ×6, first 2 shown]
	v_add_f64 v[88:89], v[32:33], -v[28:29]
	v_fma_f64 v[162:163], v[118:119], s[34:35], v[92:93]
	v_fma_f64 v[164:165], v[78:79], s[16:17], -v[104:105]
	v_fma_f64 v[166:167], v[118:119], s[38:39], v[138:139]
	v_fma_f64 v[168:169], v[78:79], s[26:27], -v[140:141]
	v_add_f64 v[80:81], v[30:31], v[34:35]
	v_fma_f64 v[170:171], v[112:113], s[36:37], v[94:95]
	v_fma_f64 v[174:175], v[112:113], s[10:11], v[108:109]
	v_add_f64 v[0:1], v[90:91], v[0:1]
	v_add_f64 v[2:3], v[98:99], v[2:3]
	;; [unrolled: 1-line block ×4, first 2 shown]
	v_add_f64 v[110:111], v[34:35], -v[30:31]
	v_mul_f64 v[90:91], v[74:75], s[26:27]
	v_mul_f64 v[98:99], v[88:89], s[38:39]
	;; [unrolled: 1-line block ×4, first 2 shown]
	v_fma_f64 v[172:173], v[82:83], s[6:7], -v[100:101]
	v_fma_f64 v[176:177], v[82:83], s[4:5], -v[116:117]
	v_add_f64 v[0:1], v[162:163], v[0:1]
	v_add_f64 v[2:3], v[164:165], v[2:3]
	v_add_f64 v[4:5], v[166:167], v[4:5]
	v_add_f64 v[6:7], v[168:169], v[6:7]
	v_fma_f64 v[162:163], v[110:111], s[38:39], v[90:91]
	v_fma_f64 v[164:165], v[80:81], s[26:27], -v[98:99]
	v_fma_f64 v[166:167], v[110:111], s[28:29], v[102:103]
	v_fma_f64 v[168:169], v[80:81], s[16:17], -v[114:115]
	v_add_f64 v[0:1], v[170:171], v[0:1]
	v_add_f64 v[2:3], v[172:173], v[2:3]
	;; [unrolled: 1-line block ×8, first 2 shown]
	s_and_saveexec_b32 s33, s0
	s_cbranch_execz .LBB0_13
; %bb.12:
	v_add_f64 v[58:59], v[58:59], v[26:27]
	v_add_f64 v[56:57], v[56:57], v[24:25]
	v_mul_f64 v[162:163], v[68:69], s[38:39]
	v_mul_f64 v[166:167], v[134:135], s[38:39]
	;; [unrolled: 1-line block ×14, first 2 shown]
	s_mov_b32 s1, 0x3fea55e2
	s_mov_b32 s0, s10
	v_mul_f64 v[68:69], v[68:69], s[10:11]
	v_add_f64 v[54:55], v[54:55], v[58:59]
	v_add_f64 v[52:53], v[52:53], v[56:57]
	v_mul_f64 v[56:57], v[118:119], s[38:39]
	v_mul_f64 v[58:59], v[152:153], s[28:29]
	v_add_f64 v[154:155], v[154:155], -v[180:181]
	v_add_f64 v[50:51], v[50:51], v[54:55]
	v_add_f64 v[48:49], v[48:49], v[52:53]
	v_mul_f64 v[52:53], v[148:149], s[6:7]
	v_mul_f64 v[54:55], v[152:153], s[20:21]
	v_fma_f64 v[190:191], v[148:149], s[16:17], -v[58:59]
	v_fma_f64 v[58:59], v[148:149], s[16:17], v[58:59]
	v_add_f64 v[56:57], v[138:139], -v[56:57]
	v_fma_f64 v[138:139], v[106:107], s[4:5], v[68:69]
	v_fma_f64 v[68:69], v[106:107], s[4:5], -v[68:69]
	v_add_f64 v[154:155], v[24:25], v[154:155]
	v_add_f64 v[46:47], v[46:47], v[50:51]
	;; [unrolled: 1-line block ×3, first 2 shown]
	v_mul_f64 v[48:49], v[148:149], s[4:5]
	v_mul_f64 v[50:51], v[150:151], s[22:23]
	v_add_f64 v[52:53], v[52:53], v[160:161]
	v_fma_f64 v[160:161], v[142:143], s[16:17], v[164:165]
	v_fma_f64 v[164:165], v[142:143], s[16:17], -v[164:165]
	v_add_f64 v[190:191], v[26:27], v[190:191]
	v_add_f64 v[58:59], v[26:27], v[58:59]
	;; [unrolled: 1-line block ×4, first 2 shown]
	v_mul_f64 v[40:41], v[110:111], s[38:39]
	s_mov_b32 s39, 0xbfddbe06
	v_mul_f64 v[46:47], v[150:151], s[20:21]
	v_mul_f64 v[152:153], v[152:153], s[38:39]
	v_add_f64 v[50:51], v[158:159], -v[50:51]
	v_fma_f64 v[158:159], v[148:149], s[18:19], -v[170:171]
	v_add_f64 v[48:49], v[48:49], v[156:157]
	v_fma_f64 v[156:157], v[142:143], s[18:19], v[172:173]
	v_fma_f64 v[170:171], v[148:149], s[18:19], v[170:171]
	v_fma_f64 v[172:173], v[142:143], s[18:19], -v[172:173]
	v_add_f64 v[160:161], v[24:25], v[160:161]
	v_add_f64 v[164:165], v[24:25], v[164:165]
	;; [unrolled: 1-line block ×5, first 2 shown]
	v_mul_f64 v[42:43], v[150:151], s[38:39]
	v_fma_f64 v[44:45], v[148:149], s[12:13], -v[54:55]
	v_fma_f64 v[150:151], v[142:143], s[12:13], v[46:47]
	v_fma_f64 v[54:55], v[148:149], s[12:13], v[54:55]
	v_fma_f64 v[46:47], v[142:143], s[12:13], -v[46:47]
	v_fma_f64 v[180:181], v[148:149], s[26:27], -v[152:153]
	v_fma_f64 v[148:149], v[148:149], s[26:27], v[152:153]
	v_mul_f64 v[152:153], v[122:123], s[28:29]
	v_add_f64 v[158:159], v[26:27], v[158:159]
	v_add_f64 v[156:157], v[24:25], v[156:157]
	;; [unrolled: 1-line block ×6, first 2 shown]
	s_mov_b32 s39, 0x3fcea1e5
	s_mov_b32 s38, s20
	v_add_f64 v[30:31], v[30:31], v[34:35]
	v_add_f64 v[28:29], v[28:29], v[32:33]
	v_fma_f64 v[32:33], v[142:143], s[26:27], v[42:43]
	v_fma_f64 v[42:43], v[142:143], s[26:27], -v[42:43]
	v_fma_f64 v[34:35], v[106:107], s[26:27], -v[162:163]
	v_fma_f64 v[142:143], v[66:67], s[26:27], v[166:167]
	v_fma_f64 v[162:163], v[106:107], s[26:27], v[162:163]
	v_add_f64 v[44:45], v[26:27], v[44:45]
	v_add_f64 v[150:151], v[24:25], v[150:151]
	;; [unrolled: 1-line block ×6, first 2 shown]
	v_fma_f64 v[148:149], v[66:67], s[26:27], -v[166:167]
	v_fma_f64 v[166:167], v[106:107], s[6:7], -v[182:183]
	v_add_f64 v[30:31], v[38:39], v[30:31]
	v_add_f64 v[28:29], v[36:37], v[28:29]
	;; [unrolled: 1-line block ×4, first 2 shown]
	v_mul_f64 v[24:25], v[124:125], s[28:29]
	v_fma_f64 v[36:37], v[66:67], s[6:7], v[184:185]
	v_fma_f64 v[38:39], v[106:107], s[6:7], v[182:183]
	v_fma_f64 v[182:183], v[66:67], s[6:7], -v[184:185]
	v_mul_f64 v[184:185], v[122:123], s[10:11]
	v_add_f64 v[34:35], v[34:35], v[44:45]
	v_mul_f64 v[44:45], v[124:125], s[10:11]
	v_add_f64 v[142:143], v[142:143], v[150:151]
	v_add_f64 v[54:55], v[162:163], v[54:55]
	v_fma_f64 v[162:163], v[66:67], s[16:17], v[188:189]
	v_add_f64 v[46:47], v[148:149], v[46:47]
	v_fma_f64 v[148:149], v[84:85], s[16:17], -v[152:153]
	v_add_f64 v[166:167], v[166:167], v[190:191]
	v_fma_f64 v[150:151], v[106:107], s[16:17], -v[186:187]
	v_fma_f64 v[152:153], v[84:85], s[16:17], v[152:153]
	v_fma_f64 v[186:187], v[106:107], s[16:17], v[186:187]
	v_mul_f64 v[122:123], v[122:123], s[22:23]
	v_add_f64 v[26:27], v[138:139], v[26:27]
	v_add_f64 v[68:69], v[68:69], v[180:181]
	;; [unrolled: 1-line block ×4, first 2 shown]
	v_mul_f64 v[138:139], v[112:113], s[38:39]
	v_fma_f64 v[190:191], v[76:77], s[16:17], v[24:25]
	v_fma_f64 v[24:25], v[76:77], s[16:17], -v[24:25]
	v_add_f64 v[38:39], v[38:39], v[58:59]
	v_mul_f64 v[58:59], v[118:119], s[0:1]
	v_add_f64 v[164:165], v[182:183], v[164:165]
	v_fma_f64 v[182:183], v[84:85], s[4:5], -v[184:185]
	v_add_f64 v[36:37], v[36:37], v[160:161]
	v_mul_f64 v[160:161], v[96:97], s[0:1]
	v_fma_f64 v[184:185], v[84:85], s[4:5], v[184:185]
	v_add_f64 v[156:157], v[162:163], v[156:157]
	v_fma_f64 v[162:163], v[76:77], s[4:5], v[44:45]
	v_add_f64 v[34:35], v[148:149], v[34:35]
	v_mul_f64 v[148:149], v[96:97], s[38:39]
	v_add_f64 v[150:151], v[150:151], v[158:159]
	v_mul_f64 v[158:159], v[86:87], s[24:25]
	v_add_f64 v[54:55], v[152:153], v[54:55]
	v_fma_f64 v[44:45], v[76:77], s[4:5], -v[44:45]
	v_mul_f64 v[152:153], v[118:119], s[38:39]
	v_add_f64 v[170:171], v[186:187], v[170:171]
	v_fma_f64 v[186:187], v[76:77], s[26:27], v[178:179]
	v_add_f64 v[18:19], v[18:19], v[22:23]
	v_add_f64 v[16:17], v[16:17], v[20:21]
	;; [unrolled: 1-line block ×4, first 2 shown]
	v_fma_f64 v[46:47], v[70:71], s[4:5], v[58:59]
	v_fma_f64 v[58:59], v[70:71], s[4:5], -v[58:59]
	v_add_f64 v[166:167], v[182:183], v[166:167]
	v_mul_f64 v[182:183], v[112:113], s[24:25]
	v_fma_f64 v[190:191], v[78:79], s[4:5], -v[160:161]
	v_fma_f64 v[160:161], v[78:79], s[4:5], v[160:161]
	v_add_f64 v[38:39], v[184:185], v[38:39]
	v_add_f64 v[36:37], v[162:163], v[36:37]
	v_fma_f64 v[162:163], v[78:79], s[12:13], -v[148:149]
	v_fma_f64 v[148:149], v[78:79], s[12:13], v[148:149]
	v_add_f64 v[44:45], v[44:45], v[164:165]
	v_mul_f64 v[164:165], v[96:97], s[22:23]
	v_fma_f64 v[184:185], v[70:71], s[12:13], v[152:153]
	v_fma_f64 v[152:153], v[70:71], s[12:13], -v[152:153]
	v_add_f64 v[156:157], v[186:187], v[156:157]
	v_mul_f64 v[96:97], v[96:97], s[24:25]
	v_add_f64 v[16:17], v[12:13], v[16:17]
	v_add_f64 v[46:47], v[46:47], v[142:143]
	;; [unrolled: 1-line block ×3, first 2 shown]
	v_fma_f64 v[58:59], v[84:85], s[26:27], -v[176:177]
	v_fma_f64 v[142:143], v[72:73], s[18:19], v[182:183]
	v_add_f64 v[34:35], v[190:191], v[34:35]
	v_fma_f64 v[190:191], v[82:83], s[18:19], -v[158:159]
	v_add_f64 v[54:55], v[160:161], v[54:55]
	v_fma_f64 v[158:159], v[82:83], s[18:19], v[158:159]
	v_fma_f64 v[182:183], v[72:73], s[18:19], -v[182:183]
	v_fma_f64 v[176:177], v[84:85], s[26:27], v[176:177]
	v_mul_f64 v[160:161], v[106:107], s[12:13]
	v_add_f64 v[38:39], v[148:149], v[38:39]
	v_fma_f64 v[148:149], v[82:83], s[26:27], v[168:169]
	v_add_f64 v[162:163], v[162:163], v[166:167]
	v_mul_f64 v[166:167], v[118:119], s[22:23]
	v_add_f64 v[36:37], v[184:185], v[36:37]
	v_fma_f64 v[184:185], v[72:73], s[26:27], v[174:175]
	v_add_f64 v[44:45], v[152:153], v[44:45]
	v_fma_f64 v[152:153], v[72:73], s[26:27], -v[174:175]
	v_mul_f64 v[174:175], v[106:107], s[18:19]
	v_mul_f64 v[106:107], v[110:111], s[24:25]
	v_add_f64 v[8:9], v[8:9], v[16:17]
	v_add_f64 v[58:59], v[58:59], v[150:151]
	;; [unrolled: 1-line block ×3, first 2 shown]
	v_mul_f64 v[142:143], v[84:85], s[18:19]
	v_add_f64 v[34:35], v[190:191], v[34:35]
	v_fma_f64 v[190:191], v[82:83], s[26:27], -v[168:169]
	v_add_f64 v[54:55], v[158:159], v[54:55]
	v_add_f64 v[158:159], v[182:183], v[24:25]
	v_mul_f64 v[24:25], v[134:135], s[20:21]
	v_fma_f64 v[150:151], v[78:79], s[6:7], -v[164:165]
	v_add_f64 v[168:169], v[176:177], v[170:171]
	v_mul_f64 v[170:171], v[88:89], s[36:37]
	v_fma_f64 v[164:165], v[78:79], s[6:7], v[164:165]
	v_add_f64 v[146:147], v[160:161], v[146:147]
	v_add_f64 v[38:39], v[148:149], v[38:39]
	v_mul_f64 v[148:149], v[124:125], s[30:31]
	v_fma_f64 v[176:177], v[66:67], s[16:17], -v[188:189]
	v_add_f64 v[44:45], v[152:153], v[44:45]
	v_mul_f64 v[152:153], v[84:85], s[12:13]
	v_add_f64 v[130:131], v[174:175], v[130:131]
	v_fma_f64 v[160:161], v[70:71], s[6:7], v[166:167]
	v_add_f64 v[182:183], v[184:185], v[36:37]
	v_mul_f64 v[36:37], v[78:79], s[26:27]
	v_mul_f64 v[174:175], v[82:83], s[6:7]
	v_fma_f64 v[166:167], v[70:71], s[6:7], -v[166:167]
	v_add_f64 v[142:143], v[142:143], v[144:145]
	v_mul_f64 v[144:145], v[134:135], s[24:25]
	v_mul_f64 v[134:135], v[134:135], s[10:11]
	;; [unrolled: 1-line block ×3, first 2 shown]
	v_add_f64 v[162:163], v[190:191], v[162:163]
	v_add_f64 v[24:25], v[136:137], -v[24:25]
	v_add_f64 v[58:59], v[150:151], v[58:59]
	v_mul_f64 v[150:151], v[78:79], s[16:17]
	v_mul_f64 v[136:137], v[118:119], s[34:35]
	v_add_f64 v[164:165], v[164:165], v[168:169]
	v_fma_f64 v[168:169], v[80:81], s[6:7], -v[170:171]
	v_add_f64 v[52:53], v[146:147], v[52:53]
	v_mul_f64 v[146:147], v[124:125], s[20:21]
	v_add_f64 v[132:133], v[132:133], -v[148:149]
	v_mul_f64 v[124:125], v[124:125], s[22:23]
	v_add_f64 v[128:129], v[152:153], v[128:129]
	v_add_f64 v[48:49], v[130:131], v[48:49]
	v_mul_f64 v[118:119], v[118:119], s[24:25]
	v_add_f64 v[172:173], v[176:177], v[172:173]
	v_add_f64 v[156:157], v[160:161], v[156:157]
	v_mul_f64 v[160:161], v[112:113], s[36:37]
	v_mul_f64 v[176:177], v[112:113], s[10:11]
	;; [unrolled: 1-line block ×3, first 2 shown]
	v_add_f64 v[126:127], v[126:127], -v[144:145]
	v_fma_f64 v[148:149], v[66:67], s[4:5], -v[134:135]
	v_add_f64 v[36:37], v[36:37], v[140:141]
	v_mul_f64 v[144:145], v[82:83], s[4:5]
	v_add_f64 v[50:51], v[24:25], v[50:51]
	v_mul_f64 v[130:131], v[80:81], s[16:17]
	v_add_f64 v[104:105], v[150:151], v[104:105]
	v_add_f64 v[92:93], v[92:93], -v[136:137]
	v_fma_f64 v[136:137], v[78:79], s[18:19], v[96:97]
	v_add_f64 v[24:25], v[168:169], v[34:35]
	v_fma_f64 v[34:35], v[66:67], s[4:5], v[134:135]
	v_add_f64 v[120:121], v[120:121], -v[146:147]
	v_fma_f64 v[146:147], v[80:81], s[6:7], v[170:171]
	v_fma_f64 v[168:169], v[76:77], s[6:7], -v[124:125]
	v_fma_f64 v[170:171], v[76:77], s[26:27], -v[178:179]
	v_fma_f64 v[76:77], v[76:77], s[6:7], v[124:125]
	v_add_f64 v[48:49], v[128:129], v[48:49]
	v_mul_f64 v[66:67], v[86:87], s[38:39]
	v_mul_f64 v[86:87], v[86:87], s[28:29]
	v_add_f64 v[52:53], v[142:143], v[52:53]
	v_fma_f64 v[78:79], v[78:79], s[18:19], -v[96:97]
	v_mul_f64 v[142:143], v[88:89], s[24:25]
	v_add_f64 v[126:127], v[126:127], v[154:155]
	v_add_f64 v[42:43], v[148:149], v[42:43]
	v_fma_f64 v[154:155], v[84:85], s[6:7], v[122:123]
	v_fma_f64 v[84:85], v[84:85], s[6:7], -v[122:123]
	v_mul_f64 v[124:125], v[88:89], s[0:1]
	v_mul_f64 v[88:89], v[88:89], s[20:21]
	v_add_f64 v[116:117], v[144:145], v[116:117]
	v_mul_f64 v[152:153], v[110:111], s[28:29]
	v_mul_f64 v[150:151], v[110:111], s[0:1]
	v_mul_f64 v[140:141], v[110:111], s[36:37]
	v_add_f64 v[32:33], v[34:35], v[32:33]
	v_fma_f64 v[128:129], v[72:73], s[12:13], v[138:139]
	v_fma_f64 v[122:123], v[74:75], s[18:19], v[106:107]
	v_fma_f64 v[106:107], v[74:75], s[18:19], -v[106:107]
	v_add_f64 v[48:49], v[104:105], v[48:49]
	v_fma_f64 v[34:35], v[82:83], s[12:13], -v[66:67]
	v_fma_f64 v[96:97], v[82:83], s[16:17], v[86:87]
	v_fma_f64 v[66:67], v[82:83], s[12:13], v[66:67]
	v_add_f64 v[36:37], v[36:37], v[52:53]
	v_add_f64 v[52:53], v[108:109], -v[176:177]
	v_add_f64 v[30:31], v[120:121], v[126:127]
	v_add_f64 v[28:29], v[168:169], v[42:43]
	v_add_f64 v[26:27], v[154:155], v[26:27]
	v_fma_f64 v[154:155], v[70:71], s[18:19], -v[118:119]
	v_add_f64 v[42:43], v[132:133], v[50:51]
	v_add_f64 v[50:51], v[170:171], v[172:173]
	v_add_f64 v[68:69], v[84:85], v[68:69]
	v_fma_f64 v[70:71], v[70:71], s[18:19], v[118:119]
	v_add_f64 v[84:85], v[94:95], -v[160:161]
	v_mul_f64 v[94:95], v[110:111], s[20:21]
	v_add_f64 v[32:33], v[76:77], v[32:33]
	v_add_f64 v[76:77], v[174:175], v[100:101]
	v_fma_f64 v[100:101], v[72:73], s[16:17], -v[112:113]
	v_fma_f64 v[120:121], v[72:73], s[12:13], -v[138:139]
	;; [unrolled: 1-line block ×3, first 2 shown]
	v_fma_f64 v[72:73], v[72:73], s[16:17], v[112:113]
	v_fma_f64 v[148:149], v[80:81], s[18:19], -v[142:143]
	v_fma_f64 v[142:143], v[80:81], s[18:19], v[142:143]
	v_fma_f64 v[134:135], v[74:75], s[6:7], v[140:141]
	v_fma_f64 v[140:141], v[74:75], s[6:7], -v[140:141]
	v_add_f64 v[36:37], v[116:117], v[36:37]
	v_add_f64 v[58:59], v[34:35], v[58:59]
	;; [unrolled: 1-line block ×11, first 2 shown]
	v_fma_f64 v[86:87], v[74:75], s[12:13], -v[94:95]
	v_add_f64 v[32:33], v[70:71], v[32:33]
	v_add_f64 v[48:49], v[76:77], v[48:49]
	v_add_f64 v[76:77], v[90:91], -v[40:41]
	v_add_f64 v[90:91], v[14:15], v[18:19]
	v_fma_f64 v[40:41], v[80:81], s[12:13], v[88:89]
	v_add_f64 v[78:79], v[184:185], v[98:99]
	v_add_f64 v[70:71], v[102:103], -v[152:153]
	v_fma_f64 v[42:43], v[80:81], s[4:5], v[124:125]
	v_fma_f64 v[56:57], v[74:75], s[4:5], -v[150:151]
	v_fma_f64 v[98:99], v[74:75], s[4:5], v[150:151]
	v_fma_f64 v[74:75], v[74:75], s[12:13], v[94:95]
	v_add_f64 v[18:19], v[142:143], v[38:39]
	v_add_f64 v[84:85], v[84:85], v[22:23]
	;; [unrolled: 1-line block ×7, first 2 shown]
	v_fma_f64 v[96:97], v[80:81], s[4:5], -v[124:125]
	v_add_f64 v[100:101], v[128:129], v[156:157]
	v_fma_f64 v[80:81], v[80:81], s[12:13], -v[88:89]
	v_add_f64 v[68:69], v[82:83], v[68:69]
	v_add_f64 v[72:73], v[72:73], v[32:33]
	;; [unrolled: 1-line block ×17, first 2 shown]
	v_mad_u32_u24 v20, 0xd0, v62, 0
	v_add_f64 v[52:53], v[80:81], v[68:69]
	v_add_f64 v[50:51], v[74:75], v[72:73]
	ds_write_b128 v20, v[8:11]
	ds_write_b128 v20, v[38:41] offset:16
	ds_write_b128 v20, v[34:37] offset:32
	;; [unrolled: 1-line block ×12, first 2 shown]
.LBB0_13:
	s_or_b32 exec_lo, exec_lo, s33
	v_and_b32_e32 v49, 0xff, v62
	v_add_nc_u32_e32 v50, 0xc3, v62
	v_mov_b32_e32 v9, 0x4ec5
	v_mov_b32_e32 v28, 6
	s_load_dwordx2 s[2:3], s[2:3], 0x0
	v_mul_lo_u16 v8, 0x4f, v49
	s_waitcnt lgkmcnt(0)
	v_mul_u32_u24_sdwa v11, v50, v9 dst_sel:DWORD dst_unused:UNUSED_PAD src0_sel:WORD_0 src1_sel:DWORD
	s_barrier
	buffer_gl0_inv
	v_lshrrev_b16 v8, 10, v8
	v_lshl_add_u32 v48, v62, 4, 0
	s_mov_b32 s0, 0x134454ff
	s_mov_b32 s1, 0x3fee6f0e
	;; [unrolled: 1-line block ×3, first 2 shown]
	v_mul_lo_u16 v10, v8, 13
	s_mov_b32 s10, s0
	s_mov_b32 s4, 0x4755a5e
	;; [unrolled: 1-line block ×4, first 2 shown]
	v_sub_nc_u16 v9, v62, v10
	v_lshrrev_b32_e32 v10, 18, v11
	s_mov_b32 s12, s4
	s_mov_b32 s6, 0x372fe950
	;; [unrolled: 1-line block ×3, first 2 shown]
	v_lshlrev_b32_sdwa v24, v28, v9 dst_sel:DWORD dst_unused:UNUSED_PAD src0_sel:DWORD src1_sel:BYTE_0
	v_mul_lo_u16 v11, v10, 13
	v_mov_b32_e32 v59, 0x410
	v_mul_u32_u24_e32 v10, 0x410, v10
	s_mov_b32 s16, 0x9b97f4a8
	s_clause 0x1
	global_load_dwordx4 v[12:15], v24, s[8:9]
	global_load_dwordx4 v[16:19], v24, s[8:9] offset:16
	v_sub_nc_u16 v11, v50, v11
	s_clause 0x1
	global_load_dwordx4 v[20:23], v24, s[8:9] offset:32
	global_load_dwordx4 v[24:27], v24, s[8:9] offset:48
	v_mul_u32_u24_sdwa v8, v8, v59 dst_sel:DWORD dst_unused:UNUSED_PAD src0_sel:WORD_0 src1_sel:DWORD
	s_mov_b32 s17, 0x3fe9e377
	v_lshlrev_b32_sdwa v40, v28, v11 dst_sel:DWORD dst_unused:UNUSED_PAD src0_sel:DWORD src1_sel:WORD_0
	s_clause 0x3
	global_load_dwordx4 v[28:31], v40, s[8:9]
	global_load_dwordx4 v[32:35], v40, s[8:9] offset:16
	global_load_dwordx4 v[36:39], v40, s[8:9] offset:32
	;; [unrolled: 1-line block ×3, first 2 shown]
	ds_read_b128 v[44:47], v48 offset:6240
	ds_read_b128 v[51:54], v48 offset:12480
	;; [unrolled: 1-line block ×8, first 2 shown]
	s_waitcnt vmcnt(7) lgkmcnt(7)
	v_mul_f64 v[86:87], v[46:47], v[14:15]
	s_waitcnt vmcnt(6) lgkmcnt(6)
	v_mul_f64 v[88:89], v[53:54], v[18:19]
	v_mul_f64 v[18:19], v[51:52], v[18:19]
	s_waitcnt vmcnt(5) lgkmcnt(5)
	v_mul_f64 v[90:91], v[57:58], v[22:23]
	v_mul_f64 v[22:23], v[55:56], v[22:23]
	v_mul_f64 v[14:15], v[44:45], v[14:15]
	s_waitcnt vmcnt(4) lgkmcnt(4)
	v_mul_f64 v[92:93], v[66:67], v[26:27]
	v_mul_f64 v[26:27], v[68:69], v[26:27]
	s_waitcnt vmcnt(3) lgkmcnt(3)
	v_mul_f64 v[94:95], v[72:73], v[30:31]
	v_mul_f64 v[30:31], v[70:71], v[30:31]
	;; [unrolled: 3-line block ×5, first 2 shown]
	v_fma_f64 v[44:45], v[44:45], v[12:13], -v[86:87]
	v_fma_f64 v[51:52], v[51:52], v[16:17], -v[88:89]
	v_fma_f64 v[53:54], v[53:54], v[16:17], v[18:19]
	v_fma_f64 v[55:56], v[55:56], v[20:21], -v[90:91]
	v_fma_f64 v[22:23], v[57:58], v[20:21], v[22:23]
	v_fma_f64 v[46:47], v[46:47], v[12:13], v[14:15]
	;; [unrolled: 1-line block ×3, first 2 shown]
	v_fma_f64 v[24:25], v[66:67], v[24:25], -v[26:27]
	ds_read_b128 v[14:17], v48
	ds_read_b128 v[18:21], v48 offset:3120
	v_fma_f64 v[26:27], v[70:71], v[28:29], -v[94:95]
	v_fma_f64 v[28:29], v[72:73], v[28:29], v[30:31]
	v_fma_f64 v[30:31], v[74:75], v[32:33], -v[96:97]
	v_fma_f64 v[32:33], v[76:77], v[32:33], v[34:35]
	;; [unrolled: 2-line block ×4, first 2 shown]
	v_mul_lo_u16 v13, 0xfd, v49
	v_mov_b32_e32 v12, 4
	v_mov_b32_e32 v49, 9
	s_waitcnt lgkmcnt(0)
	s_barrier
	v_add_f64 v[72:73], v[44:45], -v[51:52]
	v_add_f64 v[78:79], v[51:52], -v[44:45]
	v_add_f64 v[57:58], v[51:52], v[55:56]
	v_add_f64 v[84:85], v[53:54], v[22:23]
	v_add_f64 v[88:89], v[46:47], -v[53:54]
	v_add_f64 v[92:93], v[46:47], v[68:69]
	v_add_f64 v[76:77], v[44:45], v[24:25]
	;; [unrolled: 1-line block ×3, first 2 shown]
	v_add_f64 v[74:75], v[24:25], -v[55:56]
	v_add_f64 v[82:83], v[16:17], v[46:47]
	v_add_f64 v[66:67], v[46:47], -v[68:69]
	v_add_f64 v[80:81], v[55:56], -v[24:25]
	v_add_f64 v[44:45], v[44:45], -v[24:25]
	v_add_f64 v[96:97], v[30:31], v[34:35]
	v_add_f64 v[104:105], v[32:33], v[36:37]
	v_add_f64 v[100:101], v[26:27], v[38:39]
	v_add_f64 v[106:107], v[28:29], v[40:41]
	v_add_f64 v[90:91], v[68:69], -v[22:23]
	v_add_f64 v[46:47], v[53:54], -v[46:47]
	v_add_f64 v[94:95], v[22:23], -v[68:69]
	v_add_f64 v[98:99], v[18:19], v[26:27]
	v_add_f64 v[70:71], v[53:54], -v[22:23]
	v_add_f64 v[86:87], v[51:52], -v[55:56]
	v_add_f64 v[118:119], v[20:21], v[28:29]
	v_fma_f64 v[57:58], v[57:58], -0.5, v[14:15]
	v_fma_f64 v[84:85], v[84:85], -0.5, v[16:17]
	v_add_f64 v[102:103], v[28:29], -v[40:41]
	v_fma_f64 v[16:17], v[92:93], -0.5, v[16:17]
	v_fma_f64 v[14:15], v[76:77], -0.5, v[14:15]
	v_add_f64 v[110:111], v[26:27], -v[30:31]
	v_add_f64 v[114:115], v[30:31], -v[26:27]
	;; [unrolled: 1-line block ×3, first 2 shown]
	v_add_f64 v[42:43], v[42:43], v[51:52]
	v_add_f64 v[51:52], v[72:73], v[74:75]
	v_add_f64 v[108:109], v[32:33], -v[36:37]
	v_fma_f64 v[96:97], v[96:97], -0.5, v[18:19]
	v_fma_f64 v[72:73], v[104:105], -0.5, v[20:21]
	v_add_f64 v[112:113], v[38:39], -v[34:35]
	v_add_f64 v[120:121], v[30:31], -v[34:35]
	v_fma_f64 v[18:19], v[100:101], -0.5, v[18:19]
	v_fma_f64 v[20:21], v[106:107], -0.5, v[20:21]
	v_add_f64 v[122:123], v[28:29], -v[32:33]
	v_add_f64 v[28:29], v[32:33], -v[28:29]
	;; [unrolled: 1-line block ×3, first 2 shown]
	v_add_f64 v[53:54], v[82:83], v[53:54]
	v_add_f64 v[74:75], v[78:79], v[80:81]
	;; [unrolled: 1-line block ×5, first 2 shown]
	v_fma_f64 v[88:89], v[66:67], s[0:1], v[57:58]
	v_fma_f64 v[94:95], v[44:45], s[10:11], v[84:85]
	v_add_f64 v[32:33], v[118:119], v[32:33]
	v_fma_f64 v[90:91], v[70:71], s[10:11], v[14:15]
	v_fma_f64 v[14:15], v[70:71], s[0:1], v[14:15]
	;; [unrolled: 1-line block ×6, first 2 shown]
	v_add_f64 v[76:77], v[40:41], -v[36:37]
	v_fma_f64 v[100:101], v[102:103], s[0:1], v[96:97]
	v_fma_f64 v[106:107], v[26:27], s[10:11], v[72:73]
	v_add_f64 v[116:117], v[34:35], -v[38:39]
	v_add_f64 v[80:81], v[110:111], v[112:113]
	v_fma_f64 v[104:105], v[108:109], s[10:11], v[18:19]
	v_fma_f64 v[110:111], v[120:121], s[0:1], v[20:21]
	;; [unrolled: 1-line block ×6, first 2 shown]
	v_add_f64 v[92:93], v[28:29], v[92:93]
	v_add_f64 v[28:29], v[42:43], v[55:56]
	;; [unrolled: 1-line block ×4, first 2 shown]
	v_fma_f64 v[34:35], v[70:71], s[4:5], v[88:89]
	v_fma_f64 v[55:56], v[86:87], s[12:13], v[94:95]
	v_add_f64 v[32:33], v[32:33], v[36:37]
	v_fma_f64 v[42:43], v[66:67], s[4:5], v[90:91]
	v_fma_f64 v[53:54], v[66:67], s[12:13], v[14:15]
	;; [unrolled: 1-line block ×6, first 2 shown]
	v_add_f64 v[76:77], v[122:123], v[76:77]
	v_fma_f64 v[70:71], v[108:109], s[4:5], v[100:101]
	v_fma_f64 v[90:91], v[120:121], s[12:13], v[106:107]
	v_add_f64 v[82:83], v[114:115], v[116:117]
	v_fma_f64 v[86:87], v[102:103], s[4:5], v[104:105]
	v_fma_f64 v[94:95], v[26:27], s[12:13], v[110:111]
	;; [unrolled: 1-line block ×6, first 2 shown]
	v_lshrrev_b16 v13, 14, v13
	v_add_f64 v[15:16], v[28:29], v[24:25]
	v_add_f64 v[17:18], v[22:23], v[68:69]
	v_fma_f64 v[23:24], v[51:52], s[6:7], v[34:35]
	v_fma_f64 v[25:26], v[78:79], s[6:7], v[55:56]
	v_mul_lo_u16 v14, 0x41, v13
	v_add_f64 v[19:20], v[30:31], v[38:39]
	v_add_f64 v[21:22], v[32:33], v[40:41]
	v_fma_f64 v[31:32], v[74:75], s[6:7], v[42:43]
	v_fma_f64 v[33:34], v[46:47], s[6:7], v[66:67]
	;; [unrolled: 1-line block ×10, first 2 shown]
	v_sub_nc_u16 v14, v62, v14
	v_fma_f64 v[55:56], v[82:83], s[6:7], v[88:89]
	v_fma_f64 v[57:58], v[92:93], s[6:7], v[96:97]
	;; [unrolled: 1-line block ×4, first 2 shown]
	v_lshlrev_b32_sdwa v9, v12, v9 dst_sel:DWORD dst_unused:UNUSED_PAD src0_sel:DWORD src1_sel:BYTE_0
	v_mul_u32_u24_sdwa v47, v14, v49 dst_sel:DWORD dst_unused:UNUSED_PAD src0_sel:BYTE_0 src1_sel:DWORD
	v_lshlrev_b32_sdwa v11, v12, v11 dst_sel:DWORD dst_unused:UNUSED_PAD src0_sel:DWORD src1_sel:WORD_0
	buffer_gl0_inv
	v_lshlrev_b32_sdwa v12, v12, v14 dst_sel:DWORD dst_unused:UNUSED_PAD src0_sel:DWORD src1_sel:BYTE_0
	v_add3_u32 v8, 0, v8, v9
	v_lshlrev_b32_e32 v47, 4, v47
	v_add3_u32 v9, 0, v10, v11
	ds_write_b128 v8, v[15:18]
	ds_write_b128 v8, v[23:26] offset:208
	ds_write_b128 v8, v[31:34] offset:416
	;; [unrolled: 1-line block ×4, first 2 shown]
	ds_write_b128 v9, v[19:22]
	ds_write_b128 v9, v[39:42] offset:208
	ds_write_b128 v9, v[51:54] offset:416
	;; [unrolled: 1-line block ×4, first 2 shown]
	s_waitcnt lgkmcnt(0)
	s_barrier
	buffer_gl0_inv
	s_clause 0x8
	global_load_dwordx4 v[8:11], v47, s[8:9] offset:864
	global_load_dwordx4 v[15:18], v47, s[8:9] offset:896
	;; [unrolled: 1-line block ×9, first 2 shown]
	ds_read_b128 v[51:54], v48 offset:9360
	ds_read_b128 v[55:58], v48 offset:15600
	;; [unrolled: 1-line block ×9, first 2 shown]
	v_mov_b32_e32 v47, 0x28a0
	v_mul_u32_u24_sdwa v13, v13, v47 dst_sel:DWORD dst_unused:UNUSED_PAD src0_sel:WORD_0 src1_sel:DWORD
	v_add3_u32 v12, 0, v13, v12
	s_waitcnt vmcnt(8) lgkmcnt(8)
	v_mul_f64 v[94:95], v[53:54], v[10:11]
	s_waitcnt vmcnt(7) lgkmcnt(7)
	v_mul_f64 v[96:97], v[57:58], v[17:18]
	v_mul_f64 v[17:18], v[55:56], v[17:18]
	s_waitcnt vmcnt(6) lgkmcnt(6)
	v_mul_f64 v[98:99], v[66:67], v[21:22]
	s_waitcnt vmcnt(5) lgkmcnt(5)
	v_mul_f64 v[100:101], v[70:71], v[25:26]
	v_mul_f64 v[25:26], v[72:73], v[25:26]
	;; [unrolled: 1-line block ×4, first 2 shown]
	s_waitcnt vmcnt(4) lgkmcnt(4)
	v_mul_f64 v[102:103], v[76:77], v[29:30]
	v_mul_f64 v[29:30], v[74:75], v[29:30]
	s_waitcnt vmcnt(3) lgkmcnt(3)
	v_mul_f64 v[104:105], v[80:81], v[33:34]
	v_mul_f64 v[33:34], v[78:79], v[33:34]
	;; [unrolled: 3-line block ×4, first 2 shown]
	s_waitcnt vmcnt(0) lgkmcnt(0)
	v_mul_f64 v[110:111], v[90:91], v[45:46]
	v_fma_f64 v[51:52], v[51:52], v[8:9], -v[94:95]
	v_fma_f64 v[55:56], v[55:56], v[15:16], -v[96:97]
	v_fma_f64 v[15:16], v[57:58], v[15:16], v[17:18]
	v_fma_f64 v[17:18], v[68:69], v[19:20], v[98:99]
	;; [unrolled: 1-line block ×3, first 2 shown]
	v_fma_f64 v[23:24], v[70:71], v[23:24], -v[25:26]
	v_fma_f64 v[19:20], v[66:67], v[19:20], -v[21:22]
	v_fma_f64 v[53:54], v[53:54], v[8:9], v[10:11]
	v_mul_f64 v[21:22], v[92:93], v[45:46]
	ds_read_b128 v[8:11], v48
	v_fma_f64 v[25:26], v[78:79], v[31:32], -v[104:105]
	v_fma_f64 v[31:32], v[80:81], v[31:32], v[33:34]
	v_fma_f64 v[33:34], v[82:83], v[35:36], -v[106:107]
	v_fma_f64 v[35:36], v[84:85], v[35:36], v[37:38]
	v_fma_f64 v[37:38], v[86:87], v[39:40], -v[108:109]
	v_fma_f64 v[39:40], v[88:89], v[39:40], v[41:42]
	v_fma_f64 v[41:42], v[74:75], v[27:28], -v[102:103]
	v_fma_f64 v[27:28], v[76:77], v[27:28], v[29:30]
	v_fma_f64 v[45:46], v[92:93], v[43:44], v[110:111]
	s_waitcnt lgkmcnt(0)
	s_barrier
	buffer_gl0_inv
	v_add_f64 v[104:105], v[51:52], -v[55:56]
	v_add_f64 v[108:109], v[55:56], -v[51:52]
	v_add_f64 v[29:30], v[15:16], v[17:18]
	v_add_f64 v[80:81], v[15:16], -v[17:18]
	v_add_f64 v[68:69], v[51:52], v[23:24]
	v_add_f64 v[70:71], v[55:56], v[19:20]
	;; [unrolled: 1-line block ×3, first 2 shown]
	v_fma_f64 v[21:22], v[90:91], v[43:44], -v[21:22]
	v_add_f64 v[78:79], v[53:54], -v[57:58]
	v_add_f64 v[82:83], v[51:52], -v[23:24]
	;; [unrolled: 1-line block ×5, first 2 shown]
	v_add_f64 v[72:73], v[33:34], v[37:38]
	v_add_f64 v[98:99], v[35:36], v[39:40]
	v_add_f64 v[112:113], v[53:54], -v[15:16]
	v_add_f64 v[114:115], v[57:58], -v[17:18]
	v_add_f64 v[102:103], v[31:32], v[45:46]
	v_add_f64 v[116:117], v[15:16], -v[53:54]
	v_add_f64 v[118:119], v[17:18], -v[57:58]
	v_add_f64 v[43:44], v[8:9], v[25:26]
	v_add_f64 v[96:97], v[10:11], v[31:32]
	v_add_f64 v[74:75], v[31:32], -v[45:46]
	v_add_f64 v[76:77], v[35:36], -v[39:40]
	v_fma_f64 v[29:30], v[29:30], -0.5, v[27:28]
	v_add_f64 v[86:87], v[25:26], -v[33:34]
	v_fma_f64 v[68:69], v[68:69], -0.5, v[41:42]
	v_fma_f64 v[70:71], v[70:71], -0.5, v[41:42]
	;; [unrolled: 1-line block ×3, first 2 shown]
	v_add_f64 v[90:91], v[25:26], v[21:22]
	v_add_f64 v[41:42], v[41:42], v[51:52]
	;; [unrolled: 1-line block ×3, first 2 shown]
	v_add_f64 v[88:89], v[21:22], -v[37:38]
	v_add_f64 v[92:93], v[33:34], -v[25:26]
	;; [unrolled: 1-line block ×4, first 2 shown]
	v_fma_f64 v[51:52], v[72:73], -0.5, v[8:9]
	v_fma_f64 v[53:54], v[98:99], -0.5, v[10:11]
	v_add_f64 v[72:73], v[104:105], v[106:107]
	v_fma_f64 v[10:11], v[102:103], -0.5, v[10:11]
	v_add_f64 v[98:99], v[112:113], v[114:115]
	v_add_f64 v[102:103], v[116:117], v[118:119]
	v_add_f64 v[94:95], v[37:38], -v[21:22]
	v_add_f64 v[128:129], v[31:32], -v[35:36]
	;; [unrolled: 1-line block ×3, first 2 shown]
	v_add_f64 v[33:34], v[43:44], v[33:34]
	v_fma_f64 v[120:121], v[82:83], s[10:11], v[29:30]
	v_fma_f64 v[29:30], v[82:83], s[0:1], v[29:30]
	;; [unrolled: 1-line block ×8, first 2 shown]
	v_fma_f64 v[8:9], v[90:91], -0.5, v[8:9]
	v_add_f64 v[90:91], v[108:109], v[110:111]
	v_add_f64 v[35:36], v[96:97], v[35:36]
	;; [unrolled: 1-line block ×4, first 2 shown]
	v_add_f64 v[130:131], v[45:46], -v[39:40]
	v_add_f64 v[132:133], v[39:40], -v[45:46]
	v_add_f64 v[43:44], v[86:87], v[88:89]
	v_fma_f64 v[27:28], v[74:75], s[0:1], v[51:52]
	v_fma_f64 v[51:52], v[74:75], s[10:11], v[51:52]
	v_add_f64 v[33:34], v[33:34], v[37:38]
	v_fma_f64 v[104:105], v[84:85], s[12:13], v[120:121]
	v_fma_f64 v[29:30], v[84:85], s[4:5], v[29:30]
	;; [unrolled: 1-line block ×14, first 2 shown]
	v_add_f64 v[78:79], v[92:93], v[94:95]
	v_add_f64 v[35:36], v[35:36], v[39:40]
	v_add_f64 v[19:20], v[41:42], v[19:20]
	v_add_f64 v[15:16], v[15:16], v[17:18]
	v_add_f64 v[31:32], v[31:32], v[132:133]
	v_fma_f64 v[17:18], v[76:77], s[4:5], v[27:28]
	v_fma_f64 v[27:28], v[76:77], s[12:13], v[51:52]
	v_add_f64 v[21:22], v[33:34], v[21:22]
	v_fma_f64 v[84:85], v[98:99], s[6:7], v[104:105]
	v_fma_f64 v[29:30], v[98:99], s[6:7], v[29:30]
	;; [unrolled: 1-line block ×8, first 2 shown]
	v_add_f64 v[72:73], v[128:129], v[130:131]
	v_fma_f64 v[37:38], v[74:75], s[4:5], v[55:56]
	v_fma_f64 v[8:9], v[74:75], s[12:13], v[8:9]
	;; [unrolled: 1-line block ×6, first 2 shown]
	v_add_f64 v[33:34], v[35:36], v[45:46]
	v_add_f64 v[19:20], v[19:20], v[23:24]
	;; [unrolled: 1-line block ×3, first 2 shown]
	v_fma_f64 v[45:46], v[43:44], s[6:7], v[17:18]
	v_fma_f64 v[57:58], v[43:44], s[6:7], v[27:28]
	v_mul_f64 v[25:26], v[84:85], s[4:5]
	v_mul_f64 v[90:91], v[29:30], s[16:17]
	;; [unrolled: 1-line block ×8, first 2 shown]
	v_fma_f64 v[43:44], v[78:79], s[6:7], v[37:38]
	v_fma_f64 v[8:9], v[78:79], s[6:7], v[8:9]
	;; [unrolled: 1-line block ×6, first 2 shown]
	v_add_f64 v[15:16], v[21:22], v[19:20]
	v_add_f64 v[17:18], v[33:34], v[23:24]
	v_add_f64 v[19:20], v[21:22], -v[19:20]
	v_add_f64 v[21:22], v[33:34], -v[23:24]
	v_fma_f64 v[39:40], v[70:71], s[16:17], v[25:26]
	v_fma_f64 v[70:71], v[92:93], s[12:13], -v[90:91]
	v_fma_f64 v[51:52], v[66:67], s[0:1], -v[55:56]
	v_cmp_gt_u32_e64 s0, 0x41, v62
	v_fma_f64 v[55:56], v[84:85], s[16:17], v[76:77]
	v_fma_f64 v[41:42], v[68:69], s[6:7], v[53:54]
	;; [unrolled: 1-line block ×3, first 2 shown]
	v_fma_f64 v[68:69], v[88:89], s[10:11], -v[82:83]
	v_fma_f64 v[53:54], v[29:30], s[4:5], -v[74:75]
	v_add_f64 v[23:24], v[45:46], v[39:40]
	v_add_f64 v[37:38], v[72:73], v[70:71]
	;; [unrolled: 1-line block ×3, first 2 shown]
	v_add_f64 v[39:40], v[45:46], -v[39:40]
	v_add_f64 v[25:26], v[78:79], v[55:56]
	v_add_f64 v[27:28], v[43:44], v[41:42]
	;; [unrolled: 1-line block ×5, first 2 shown]
	v_add_f64 v[43:44], v[43:44], -v[41:42]
	v_add_f64 v[41:42], v[78:79], -v[55:56]
	;; [unrolled: 1-line block ×7, first 2 shown]
	ds_write_b128 v12, v[15:18]
	ds_write_b128 v12, v[19:22] offset:5200
	ds_write_b128 v12, v[23:26] offset:1040
	;; [unrolled: 1-line block ×9, first 2 shown]
	s_waitcnt lgkmcnt(0)
	s_barrier
	buffer_gl0_inv
	ds_read_b128 v[12:15], v48
	ds_read_b128 v[16:19], v48 offset:3120
	ds_read_b128 v[24:27], v48 offset:20800
	;; [unrolled: 1-line block ×8, first 2 shown]
	s_and_saveexec_b32 s1, s0
	s_cbranch_execz .LBB0_15
; %bb.14:
	ds_read_b128 v[8:11], v48 offset:9360
	ds_read_b128 v[0:3], v48 offset:19760
	;; [unrolled: 1-line block ×3, first 2 shown]
.LBB0_15:
	s_or_b32 exec_lo, exec_lo, s1
	s_and_saveexec_b32 s1, vcc_lo
	s_cbranch_execz .LBB0_18
; %bb.16:
	v_add_nc_u32_e32 v94, 0x186, v62
	v_mov_b32_e32 v49, 0
	v_mul_lo_u32 v92, s2, v65
	v_lshlrev_b64 v[60:61], 4, v[60:61]
	s_mov_b32 s5, 0xbfebb67a
	v_lshlrev_b32_e32 v48, 1, v94
	v_mul_hi_u32 v95, 0xc9a633fd, v94
	v_lshlrev_b64 v[51:52], 4, v[48:49]
	v_lshlrev_b32_e32 v48, 1, v50
	v_lshlrev_b64 v[53:54], 4, v[48:49]
	v_add_co_u32 v50, vcc_lo, s8, v51
	v_add_co_ci_u32_e32 v51, vcc_lo, s9, v52, vcc_lo
	v_lshlrev_b32_e32 v48, 1, v62
	v_add_co_u32 v55, vcc_lo, 0x27d0, v50
	v_add_co_ci_u32_e32 v56, vcc_lo, 0, v51, vcc_lo
	v_add_co_u32 v50, vcc_lo, 0x2000, v50
	v_add_co_ci_u32_e32 v51, vcc_lo, 0, v51, vcc_lo
	v_lshlrev_b64 v[58:59], 4, v[48:49]
	v_add_co_u32 v48, vcc_lo, s8, v53
	v_add_co_ci_u32_e32 v63, vcc_lo, s9, v54, vcc_lo
	s_clause 0x1
	global_load_dwordx4 v[50:53], v[50:51], off offset:2000
	global_load_dwordx4 v[54:57], v[55:56], off offset:16
	v_add_co_u32 v70, vcc_lo, 0x27d0, v48
	v_add_co_ci_u32_e32 v71, vcc_lo, 0, v63, vcc_lo
	v_add_co_u32 v66, vcc_lo, s8, v58
	v_add_co_ci_u32_e32 v67, vcc_lo, s9, v59, vcc_lo
	;; [unrolled: 2-line block ×5, first 2 shown]
	s_clause 0x3
	global_load_dwordx4 v[66:69], v[58:59], off offset:2000
	global_load_dwordx4 v[70:73], v[70:71], off offset:16
	;; [unrolled: 1-line block ×4, first 2 shown]
	v_mul_lo_u32 v48, s3, v64
	v_mad_u64_u32 v[58:59], null, s2, v64, 0
	v_mov_b32_e32 v63, v49
	s_mov_b32 s2, 0xe8584caa
	s_mov_b32 s3, 0x3febb67a
	;; [unrolled: 1-line block ×3, first 2 shown]
	v_add3_u32 v59, v59, v92, v48
	v_lshrrev_b32_e32 v48, 9, v95
	v_lshlrev_b64 v[92:93], 4, v[62:63]
	v_lshlrev_b64 v[58:59], 4, v[58:59]
	v_mad_u32_u24 v48, 0x514, v48, v94
	s_waitcnt vmcnt(5) lgkmcnt(1)
	v_mul_f64 v[64:65], v[42:43], v[52:53]
	v_mul_f64 v[52:53], v[40:41], v[52:53]
	s_waitcnt vmcnt(4) lgkmcnt(0)
	v_mul_f64 v[82:83], v[46:47], v[56:57]
	v_mul_f64 v[56:57], v[44:45], v[56:57]
	s_waitcnt vmcnt(3)
	v_mul_f64 v[84:85], v[38:39], v[68:69]
	s_waitcnt vmcnt(2)
	v_mul_f64 v[86:87], v[34:35], v[72:73]
	v_mul_f64 v[68:69], v[36:37], v[68:69]
	;; [unrolled: 1-line block ×3, first 2 shown]
	s_waitcnt vmcnt(1)
	v_mul_f64 v[88:89], v[30:31], v[76:77]
	s_waitcnt vmcnt(0)
	v_mul_f64 v[90:91], v[26:27], v[80:81]
	v_mul_f64 v[76:77], v[28:29], v[76:77]
	;; [unrolled: 1-line block ×3, first 2 shown]
	v_fma_f64 v[40:41], v[40:41], v[50:51], -v[64:65]
	v_fma_f64 v[42:43], v[42:43], v[50:51], v[52:53]
	v_fma_f64 v[44:45], v[44:45], v[54:55], -v[82:83]
	v_fma_f64 v[46:47], v[46:47], v[54:55], v[56:57]
	v_lshlrev_b64 v[52:53], 4, v[48:49]
	v_fma_f64 v[36:37], v[36:37], v[66:67], -v[84:85]
	v_fma_f64 v[32:33], v[32:33], v[70:71], -v[86:87]
	v_fma_f64 v[38:39], v[38:39], v[66:67], v[68:69]
	v_fma_f64 v[34:35], v[34:35], v[70:71], v[72:73]
	v_fma_f64 v[28:29], v[28:29], v[74:75], -v[88:89]
	v_fma_f64 v[50:51], v[24:25], v[78:79], -v[90:91]
	v_fma_f64 v[30:31], v[30:31], v[74:75], v[76:77]
	v_fma_f64 v[26:27], v[26:27], v[78:79], v[80:81]
	v_add_co_u32 v24, vcc_lo, s14, v58
	v_add_co_ci_u32_e32 v25, vcc_lo, s15, v59, vcc_lo
	v_add_f64 v[56:57], v[40:41], v[44:45]
	v_add_co_u32 v58, vcc_lo, v24, v60
	v_add_co_ci_u32_e32 v59, vcc_lo, v25, v61, vcc_lo
	v_add_f64 v[54:55], v[42:43], v[46:47]
	v_add_co_u32 v24, vcc_lo, v58, v92
	v_add_co_ci_u32_e32 v25, vcc_lo, v59, v93, vcc_lo
	v_add_co_u32 v58, vcc_lo, v58, v52
	v_add_co_ci_u32_e32 v59, vcc_lo, v59, v53, vcc_lo
	v_add_f64 v[52:53], v[38:39], v[34:35]
	v_add_f64 v[60:61], v[36:37], v[32:33]
	v_add_f64 v[65:66], v[28:29], v[50:51]
	v_add_f64 v[63:64], v[30:31], v[26:27]
	v_add_f64 v[73:74], v[36:37], -v[32:33]
	v_add_f64 v[75:76], v[18:19], v[38:39]
	v_add_f64 v[36:37], v[16:17], v[36:37]
	;; [unrolled: 1-line block ×4, first 2 shown]
	v_add_f64 v[69:70], v[40:41], -v[44:45]
	v_add_f64 v[40:41], v[20:21], v[40:41]
	v_add_f64 v[38:39], v[38:39], -v[34:35]
	v_add_f64 v[81:82], v[28:29], -v[50:51]
	;; [unrolled: 1-line block ×3, first 2 shown]
	v_add_f64 v[71:72], v[22:23], v[42:43]
	v_add_f64 v[42:43], v[42:43], -v[46:47]
	v_fma_f64 v[56:57], v[56:57], -0.5, v[20:21]
	v_fma_f64 v[54:55], v[54:55], -0.5, v[22:23]
	v_add_co_u32 v67, vcc_lo, 0x2800, v24
	v_add_co_ci_u32_e32 v68, vcc_lo, 0, v25, vcc_lo
	v_fma_f64 v[52:53], v[52:53], -0.5, v[18:19]
	v_fma_f64 v[60:61], v[60:61], -0.5, v[16:17]
	v_fma_f64 v[65:66], v[65:66], -0.5, v[12:13]
	v_fma_f64 v[63:64], v[63:64], -0.5, v[14:15]
	v_add_co_u32 v85, vcc_lo, 0x5000, v24
	v_add_f64 v[18:19], v[75:76], v[34:35]
	v_add_f64 v[16:17], v[36:37], v[32:33]
	;; [unrolled: 1-line block ×5, first 2 shown]
	v_add_co_ci_u32_e32 v86, vcc_lo, 0, v25, vcc_lo
	v_add_co_u32 v87, vcc_lo, 0x800, v24
	v_add_f64 v[14:15], v[71:72], v[46:47]
	v_fma_f64 v[26:27], v[42:43], s[4:5], v[56:57]
	v_fma_f64 v[30:31], v[42:43], s[2:3], v[56:57]
	v_fma_f64 v[32:33], v[69:70], s[4:5], v[54:55]
	v_fma_f64 v[28:29], v[69:70], s[2:3], v[54:55]
	v_add_co_ci_u32_e32 v88, vcc_lo, 0, v25, vcc_lo
	v_fma_f64 v[40:41], v[73:74], s[4:5], v[52:53]
	v_fma_f64 v[34:35], v[38:39], s[4:5], v[60:61]
	;; [unrolled: 1-line block ×8, first 2 shown]
	v_add_co_u32 v46, vcc_lo, 0x3000, v24
	v_add_co_ci_u32_e32 v47, vcc_lo, 0, v25, vcc_lo
	v_add_co_u32 v54, vcc_lo, 0x5800, v24
	v_add_co_ci_u32_e32 v55, vcc_lo, 0, v25, vcc_lo
	;; [unrolled: 2-line block ×4, first 2 shown]
	global_store_dwordx4 v[87:88], v[16:19], off offset:1072
	global_store_dwordx4 v[24:25], v[20:23], off
	global_store_dwordx4 v[46:47], v[38:41], off offset:1232
	global_store_dwordx4 v[54:55], v[34:37], off offset:1392
	;; [unrolled: 1-line block ×4, first 2 shown]
	global_store_dwordx4 v[58:59], v[12:15], off
	global_store_dwordx4 v[56:57], v[30:33], off offset:160
	global_store_dwordx4 v[60:61], v[26:29], off offset:320
	s_and_b32 exec_lo, exec_lo, s0
	s_cbranch_execz .LBB0_18
; %bb.17:
	v_mov_b32_e32 v12, 0x249
	v_cndmask_b32_e64 v12, 0xffffffbf, v12, s0
	v_add_lshl_u32 v48, v62, v12, 1
	v_lshlrev_b64 v[12:13], 4, v[48:49]
	v_add_co_u32 v14, vcc_lo, s8, v12
	v_add_co_ci_u32_e32 v15, vcc_lo, s9, v13, vcc_lo
	v_add_co_u32 v12, vcc_lo, 0x2000, v14
	v_add_co_ci_u32_e32 v13, vcc_lo, 0, v15, vcc_lo
	;; [unrolled: 2-line block ×3, first 2 shown]
	s_clause 0x1
	global_load_dwordx4 v[12:15], v[12:13], off offset:2000
	global_load_dwordx4 v[16:19], v[16:17], off offset:16
	s_waitcnt vmcnt(1)
	v_mul_f64 v[20:21], v[2:3], v[14:15]
	s_waitcnt vmcnt(0)
	v_mul_f64 v[22:23], v[6:7], v[18:19]
	v_mul_f64 v[14:15], v[0:1], v[14:15]
	;; [unrolled: 1-line block ×3, first 2 shown]
	v_fma_f64 v[0:1], v[0:1], v[12:13], -v[20:21]
	v_fma_f64 v[4:5], v[4:5], v[16:17], -v[22:23]
	v_fma_f64 v[2:3], v[2:3], v[12:13], v[14:15]
	v_fma_f64 v[6:7], v[6:7], v[16:17], v[18:19]
	v_add_f64 v[16:17], v[8:9], v[0:1]
	v_add_f64 v[12:13], v[0:1], v[4:5]
	v_add_f64 v[14:15], v[2:3], v[6:7]
	v_add_f64 v[18:19], v[2:3], -v[6:7]
	v_add_f64 v[2:3], v[10:11], v[2:3]
	v_fma_f64 v[8:9], v[12:13], -0.5, v[8:9]
	v_add_f64 v[12:13], v[0:1], -v[4:5]
	v_fma_f64 v[10:11], v[14:15], -0.5, v[10:11]
	v_add_f64 v[0:1], v[16:17], v[4:5]
	v_add_f64 v[2:3], v[2:3], v[6:7]
	v_fma_f64 v[4:5], v[18:19], s[2:3], v[8:9]
	v_fma_f64 v[8:9], v[18:19], s[4:5], v[8:9]
	;; [unrolled: 1-line block ×4, first 2 shown]
	v_add_co_u32 v12, vcc_lo, 0x2000, v24
	v_add_co_ci_u32_e32 v13, vcc_lo, 0, v25, vcc_lo
	v_add_co_u32 v14, vcc_lo, 0x4800, v24
	v_add_co_ci_u32_e32 v15, vcc_lo, 0, v25, vcc_lo
	;; [unrolled: 2-line block ×3, first 2 shown]
	global_store_dwordx4 v[12:13], v[0:3], off offset:1168
	global_store_dwordx4 v[14:15], v[4:7], off offset:1328
	;; [unrolled: 1-line block ×3, first 2 shown]
.LBB0_18:
	s_endpgm
	.section	.rodata,"a",@progbits
	.p2align	6, 0x0
	.amdhsa_kernel fft_rtc_fwd_len1950_factors_13_5_10_3_wgs_195_tpt_195_dp_op_CI_CI_unitstride_sbrr_dirReg
		.amdhsa_group_segment_fixed_size 0
		.amdhsa_private_segment_fixed_size 0
		.amdhsa_kernarg_size 104
		.amdhsa_user_sgpr_count 6
		.amdhsa_user_sgpr_private_segment_buffer 1
		.amdhsa_user_sgpr_dispatch_ptr 0
		.amdhsa_user_sgpr_queue_ptr 0
		.amdhsa_user_sgpr_kernarg_segment_ptr 1
		.amdhsa_user_sgpr_dispatch_id 0
		.amdhsa_user_sgpr_flat_scratch_init 0
		.amdhsa_user_sgpr_private_segment_size 0
		.amdhsa_wavefront_size32 1
		.amdhsa_uses_dynamic_stack 0
		.amdhsa_system_sgpr_private_segment_wavefront_offset 0
		.amdhsa_system_sgpr_workgroup_id_x 1
		.amdhsa_system_sgpr_workgroup_id_y 0
		.amdhsa_system_sgpr_workgroup_id_z 0
		.amdhsa_system_sgpr_workgroup_info 0
		.amdhsa_system_vgpr_workitem_id 0
		.amdhsa_next_free_vgpr 192
		.amdhsa_next_free_sgpr 40
		.amdhsa_reserve_vcc 1
		.amdhsa_reserve_flat_scratch 0
		.amdhsa_float_round_mode_32 0
		.amdhsa_float_round_mode_16_64 0
		.amdhsa_float_denorm_mode_32 3
		.amdhsa_float_denorm_mode_16_64 3
		.amdhsa_dx10_clamp 1
		.amdhsa_ieee_mode 1
		.amdhsa_fp16_overflow 0
		.amdhsa_workgroup_processor_mode 1
		.amdhsa_memory_ordered 1
		.amdhsa_forward_progress 0
		.amdhsa_shared_vgpr_count 0
		.amdhsa_exception_fp_ieee_invalid_op 0
		.amdhsa_exception_fp_denorm_src 0
		.amdhsa_exception_fp_ieee_div_zero 0
		.amdhsa_exception_fp_ieee_overflow 0
		.amdhsa_exception_fp_ieee_underflow 0
		.amdhsa_exception_fp_ieee_inexact 0
		.amdhsa_exception_int_div_zero 0
	.end_amdhsa_kernel
	.text
.Lfunc_end0:
	.size	fft_rtc_fwd_len1950_factors_13_5_10_3_wgs_195_tpt_195_dp_op_CI_CI_unitstride_sbrr_dirReg, .Lfunc_end0-fft_rtc_fwd_len1950_factors_13_5_10_3_wgs_195_tpt_195_dp_op_CI_CI_unitstride_sbrr_dirReg
                                        ; -- End function
	.section	.AMDGPU.csdata,"",@progbits
; Kernel info:
; codeLenInByte = 10764
; NumSgprs: 42
; NumVgprs: 192
; ScratchSize: 0
; MemoryBound: 1
; FloatMode: 240
; IeeeMode: 1
; LDSByteSize: 0 bytes/workgroup (compile time only)
; SGPRBlocks: 5
; VGPRBlocks: 23
; NumSGPRsForWavesPerEU: 42
; NumVGPRsForWavesPerEU: 192
; Occupancy: 5
; WaveLimiterHint : 1
; COMPUTE_PGM_RSRC2:SCRATCH_EN: 0
; COMPUTE_PGM_RSRC2:USER_SGPR: 6
; COMPUTE_PGM_RSRC2:TRAP_HANDLER: 0
; COMPUTE_PGM_RSRC2:TGID_X_EN: 1
; COMPUTE_PGM_RSRC2:TGID_Y_EN: 0
; COMPUTE_PGM_RSRC2:TGID_Z_EN: 0
; COMPUTE_PGM_RSRC2:TIDIG_COMP_CNT: 0
	.text
	.p2alignl 6, 3214868480
	.fill 48, 4, 3214868480
	.type	__hip_cuid_3388f6005be4c0c2,@object ; @__hip_cuid_3388f6005be4c0c2
	.section	.bss,"aw",@nobits
	.globl	__hip_cuid_3388f6005be4c0c2
__hip_cuid_3388f6005be4c0c2:
	.byte	0                               ; 0x0
	.size	__hip_cuid_3388f6005be4c0c2, 1

	.ident	"AMD clang version 19.0.0git (https://github.com/RadeonOpenCompute/llvm-project roc-6.4.0 25133 c7fe45cf4b819c5991fe208aaa96edf142730f1d)"
	.section	".note.GNU-stack","",@progbits
	.addrsig
	.addrsig_sym __hip_cuid_3388f6005be4c0c2
	.amdgpu_metadata
---
amdhsa.kernels:
  - .args:
      - .actual_access:  read_only
        .address_space:  global
        .offset:         0
        .size:           8
        .value_kind:     global_buffer
      - .offset:         8
        .size:           8
        .value_kind:     by_value
      - .actual_access:  read_only
        .address_space:  global
        .offset:         16
        .size:           8
        .value_kind:     global_buffer
      - .actual_access:  read_only
        .address_space:  global
        .offset:         24
        .size:           8
        .value_kind:     global_buffer
      - .actual_access:  read_only
        .address_space:  global
        .offset:         32
        .size:           8
        .value_kind:     global_buffer
      - .offset:         40
        .size:           8
        .value_kind:     by_value
      - .actual_access:  read_only
        .address_space:  global
        .offset:         48
        .size:           8
        .value_kind:     global_buffer
      - .actual_access:  read_only
        .address_space:  global
        .offset:         56
        .size:           8
        .value_kind:     global_buffer
      - .offset:         64
        .size:           4
        .value_kind:     by_value
      - .actual_access:  read_only
        .address_space:  global
        .offset:         72
        .size:           8
        .value_kind:     global_buffer
      - .actual_access:  read_only
        .address_space:  global
        .offset:         80
        .size:           8
        .value_kind:     global_buffer
      - .actual_access:  read_only
        .address_space:  global
        .offset:         88
        .size:           8
        .value_kind:     global_buffer
      - .actual_access:  write_only
        .address_space:  global
        .offset:         96
        .size:           8
        .value_kind:     global_buffer
    .group_segment_fixed_size: 0
    .kernarg_segment_align: 8
    .kernarg_segment_size: 104
    .language:       OpenCL C
    .language_version:
      - 2
      - 0
    .max_flat_workgroup_size: 195
    .name:           fft_rtc_fwd_len1950_factors_13_5_10_3_wgs_195_tpt_195_dp_op_CI_CI_unitstride_sbrr_dirReg
    .private_segment_fixed_size: 0
    .sgpr_count:     42
    .sgpr_spill_count: 0
    .symbol:         fft_rtc_fwd_len1950_factors_13_5_10_3_wgs_195_tpt_195_dp_op_CI_CI_unitstride_sbrr_dirReg.kd
    .uniform_work_group_size: 1
    .uses_dynamic_stack: false
    .vgpr_count:     192
    .vgpr_spill_count: 0
    .wavefront_size: 32
    .workgroup_processor_mode: 1
amdhsa.target:   amdgcn-amd-amdhsa--gfx1030
amdhsa.version:
  - 1
  - 2
...

	.end_amdgpu_metadata
